;; amdgpu-corpus repo=ROCm/rocFFT kind=compiled arch=gfx950 opt=O3
	.text
	.amdgcn_target "amdgcn-amd-amdhsa--gfx950"
	.amdhsa_code_object_version 6
	.protected	fft_rtc_fwd_len96_factors_6_16_wgs_128_tpt_16_half_op_CI_CI_unitstride_sbrr_dirReg ; -- Begin function fft_rtc_fwd_len96_factors_6_16_wgs_128_tpt_16_half_op_CI_CI_unitstride_sbrr_dirReg
	.globl	fft_rtc_fwd_len96_factors_6_16_wgs_128_tpt_16_half_op_CI_CI_unitstride_sbrr_dirReg
	.p2align	8
	.type	fft_rtc_fwd_len96_factors_6_16_wgs_128_tpt_16_half_op_CI_CI_unitstride_sbrr_dirReg,@function
fft_rtc_fwd_len96_factors_6_16_wgs_128_tpt_16_half_op_CI_CI_unitstride_sbrr_dirReg: ; @fft_rtc_fwd_len96_factors_6_16_wgs_128_tpt_16_half_op_CI_CI_unitstride_sbrr_dirReg
; %bb.0:
	s_load_dwordx4 s[4:7], s[0:1], 0x58
	s_load_dwordx4 s[8:11], s[0:1], 0x0
	;; [unrolled: 1-line block ×3, first 2 shown]
	v_lshrrev_b32_e32 v1, 4, v0
	v_lshl_or_b32 v6, s2, 3, v1
	v_mov_b32_e32 v4, 0
	s_waitcnt lgkmcnt(0)
	v_cmp_lt_u64_e64 s[2:3], s[10:11], 2
	v_mov_b32_e32 v7, v4
	s_and_b64 vcc, exec, s[2:3]
	v_mov_b64_e32 v[2:3], 0
	s_cbranch_vccnz .LBB0_8
; %bb.1:
	s_load_dwordx2 s[2:3], s[0:1], 0x10
	s_add_u32 s16, s14, 8
	s_addc_u32 s17, s15, 0
	s_add_u32 s18, s12, 8
	s_addc_u32 s19, s13, 0
	s_waitcnt lgkmcnt(0)
	s_add_u32 s20, s2, 8
	v_mov_b64_e32 v[2:3], 0
	s_addc_u32 s21, s3, 0
	s_mov_b64 s[22:23], 1
	v_mov_b64_e32 v[8:9], v[2:3]
.LBB0_2:                                ; =>This Inner Loop Header: Depth=1
	s_load_dwordx2 s[24:25], s[20:21], 0x0
                                        ; implicit-def: $vgpr10_vgpr11
	s_waitcnt lgkmcnt(0)
	v_or_b32_e32 v5, s25, v7
	v_cmp_ne_u64_e32 vcc, 0, v[4:5]
	s_and_saveexec_b64 s[2:3], vcc
	s_xor_b64 s[26:27], exec, s[2:3]
	s_cbranch_execz .LBB0_4
; %bb.3:                                ;   in Loop: Header=BB0_2 Depth=1
	v_cvt_f32_u32_e32 v5, s24
	v_cvt_f32_u32_e32 v10, s25
	s_sub_u32 s2, 0, s24
	s_subb_u32 s3, 0, s25
	v_fmac_f32_e32 v5, 0x4f800000, v10
	v_rcp_f32_e32 v5, v5
	s_nop 0
	v_mul_f32_e32 v5, 0x5f7ffffc, v5
	v_mul_f32_e32 v10, 0x2f800000, v5
	v_trunc_f32_e32 v10, v10
	v_fmac_f32_e32 v5, 0xcf800000, v10
	v_cvt_u32_f32_e32 v14, v10
	v_cvt_u32_f32_e32 v5, v5
	v_mul_lo_u32 v10, s2, v14
	v_mul_hi_u32 v12, s2, v5
	v_mul_lo_u32 v11, s3, v5
	v_add_u32_e32 v12, v12, v10
	v_mul_lo_u32 v15, s2, v5
	v_add_u32_e32 v16, v12, v11
	v_mul_hi_u32 v10, v5, v15
	v_mul_hi_u32 v13, v5, v16
	v_mul_lo_u32 v12, v5, v16
	v_mov_b32_e32 v11, v4
	v_lshl_add_u64 v[10:11], v[10:11], 0, v[12:13]
	v_mul_hi_u32 v13, v14, v15
	v_mul_lo_u32 v15, v14, v15
	v_add_co_u32_e32 v10, vcc, v10, v15
	v_mul_hi_u32 v12, v14, v16
	s_nop 0
	v_addc_co_u32_e32 v10, vcc, v11, v13, vcc
	v_mov_b32_e32 v11, v4
	s_nop 0
	v_addc_co_u32_e32 v13, vcc, 0, v12, vcc
	v_mul_lo_u32 v12, v14, v16
	v_lshl_add_u64 v[10:11], v[10:11], 0, v[12:13]
	v_add_co_u32_e32 v5, vcc, v5, v10
	v_mul_lo_u32 v12, s2, v5
	s_nop 0
	v_addc_co_u32_e32 v14, vcc, v14, v11, vcc
	v_mul_lo_u32 v10, s2, v14
	v_mul_hi_u32 v11, s2, v5
	v_add_u32_e32 v10, v11, v10
	v_mul_lo_u32 v11, s3, v5
	v_add_u32_e32 v15, v10, v11
	v_mul_hi_u32 v17, v14, v12
	v_mul_lo_u32 v18, v14, v12
	v_mul_hi_u32 v11, v5, v15
	v_mul_lo_u32 v10, v5, v15
	v_mul_hi_u32 v12, v5, v12
	v_mov_b32_e32 v13, v4
	v_lshl_add_u64 v[10:11], v[12:13], 0, v[10:11]
	v_add_co_u32_e32 v10, vcc, v10, v18
	v_mul_hi_u32 v16, v14, v15
	s_nop 0
	v_addc_co_u32_e32 v10, vcc, v11, v17, vcc
	v_mul_lo_u32 v12, v14, v15
	s_nop 0
	v_addc_co_u32_e32 v13, vcc, 0, v16, vcc
	v_mov_b32_e32 v11, v4
	v_lshl_add_u64 v[10:11], v[10:11], 0, v[12:13]
	v_add_co_u32_e32 v5, vcc, v5, v10
	v_mul_hi_u32 v12, v6, v5
	s_nop 0
	v_addc_co_u32_e32 v14, vcc, v14, v11, vcc
	v_mad_u64_u32 v[10:11], s[2:3], v6, v14, 0
	v_mov_b32_e32 v13, v4
	v_lshl_add_u64 v[10:11], v[12:13], 0, v[10:11]
	v_mad_u64_u32 v[12:13], s[2:3], v7, v14, 0
	v_mad_u64_u32 v[14:15], s[2:3], v7, v5, 0
	v_add_co_u32_e32 v5, vcc, v10, v14
	s_nop 1
	v_addc_co_u32_e32 v10, vcc, v11, v15, vcc
	v_mov_b32_e32 v11, v4
	s_nop 0
	v_addc_co_u32_e32 v13, vcc, 0, v13, vcc
	v_lshl_add_u64 v[10:11], v[10:11], 0, v[12:13]
	v_mul_lo_u32 v5, s25, v10
	v_mul_lo_u32 v14, s24, v11
	v_mad_u64_u32 v[12:13], s[2:3], s24, v10, 0
	v_add3_u32 v5, v13, v14, v5
	v_sub_u32_e32 v13, v7, v5
	v_mov_b32_e32 v14, s25
	v_sub_co_u32_e32 v16, vcc, v6, v12
	s_nop 1
	v_subb_co_u32_e64 v12, s[2:3], v13, v14, vcc
	v_subrev_co_u32_e64 v13, s[2:3], s24, v16
	v_subb_co_u32_e32 v5, vcc, v7, v5, vcc
	s_nop 0
	v_subbrev_co_u32_e64 v12, s[2:3], 0, v12, s[2:3]
	v_cmp_le_u32_e64 s[2:3], s25, v12
	v_cmp_le_u32_e32 vcc, s25, v5
	s_nop 0
	v_cndmask_b32_e64 v14, 0, -1, s[2:3]
	v_cmp_le_u32_e64 s[2:3], s24, v13
	s_nop 1
	v_cndmask_b32_e64 v13, 0, -1, s[2:3]
	v_cmp_eq_u32_e64 s[2:3], s25, v12
	s_nop 1
	v_cndmask_b32_e64 v17, v14, v13, s[2:3]
	v_lshl_add_u64 v[12:13], v[10:11], 0, 2
	v_lshl_add_u64 v[14:15], v[10:11], 0, 1
	v_cmp_ne_u32_e64 s[2:3], 0, v17
	s_nop 1
	v_cndmask_b32_e64 v13, v15, v13, s[2:3]
	v_cndmask_b32_e64 v15, 0, -1, vcc
	v_cmp_le_u32_e32 vcc, s24, v16
	s_nop 1
	v_cndmask_b32_e64 v16, 0, -1, vcc
	v_cmp_eq_u32_e32 vcc, s25, v5
	s_nop 1
	v_cndmask_b32_e32 v5, v15, v16, vcc
	v_cmp_ne_u32_e32 vcc, 0, v5
	v_cndmask_b32_e64 v5, v14, v12, s[2:3]
	s_nop 0
	v_cndmask_b32_e32 v11, v11, v13, vcc
	v_cndmask_b32_e32 v10, v10, v5, vcc
.LBB0_4:                                ;   in Loop: Header=BB0_2 Depth=1
	s_andn2_saveexec_b64 s[2:3], s[26:27]
	s_cbranch_execz .LBB0_6
; %bb.5:                                ;   in Loop: Header=BB0_2 Depth=1
	v_cvt_f32_u32_e32 v5, s24
	s_sub_i32 s26, 0, s24
	v_rcp_iflag_f32_e32 v5, v5
	s_nop 0
	v_mul_f32_e32 v5, 0x4f7ffffe, v5
	v_cvt_u32_f32_e32 v5, v5
	v_mul_lo_u32 v10, s26, v5
	v_mul_hi_u32 v10, v5, v10
	v_add_u32_e32 v5, v5, v10
	v_mul_hi_u32 v5, v6, v5
	v_mul_lo_u32 v10, v5, s24
	v_sub_u32_e32 v10, v6, v10
	v_add_u32_e32 v11, 1, v5
	v_subrev_u32_e32 v12, s24, v10
	v_cmp_le_u32_e32 vcc, s24, v10
	s_nop 1
	v_cndmask_b32_e32 v10, v10, v12, vcc
	v_cndmask_b32_e32 v5, v5, v11, vcc
	v_add_u32_e32 v11, 1, v5
	v_cmp_le_u32_e32 vcc, s24, v10
	s_nop 1
	v_cndmask_b32_e32 v10, v5, v11, vcc
	v_mov_b32_e32 v11, v4
.LBB0_6:                                ;   in Loop: Header=BB0_2 Depth=1
	s_or_b64 exec, exec, s[2:3]
	v_mad_u64_u32 v[12:13], s[2:3], v10, s24, 0
	s_load_dwordx2 s[2:3], s[18:19], 0x0
	v_mul_lo_u32 v5, v11, s24
	v_mul_lo_u32 v14, v10, s25
	s_load_dwordx2 s[24:25], s[16:17], 0x0
	s_add_u32 s22, s22, 1
	v_add3_u32 v5, v13, v14, v5
	v_sub_co_u32_e32 v6, vcc, v6, v12
	s_addc_u32 s23, s23, 0
	s_nop 0
	v_subb_co_u32_e32 v5, vcc, v7, v5, vcc
	s_add_u32 s16, s16, 8
	s_waitcnt lgkmcnt(0)
	v_mul_lo_u32 v7, s2, v5
	v_mul_lo_u32 v12, s3, v6
	v_mad_u64_u32 v[2:3], s[2:3], s2, v6, v[2:3]
	s_addc_u32 s17, s17, 0
	v_add3_u32 v3, v12, v3, v7
	v_mul_lo_u32 v5, s24, v5
	v_mul_lo_u32 v7, s25, v6
	v_mad_u64_u32 v[8:9], s[2:3], s24, v6, v[8:9]
	s_add_u32 s18, s18, 8
	v_add3_u32 v9, v7, v9, v5
	s_addc_u32 s19, s19, 0
	v_mov_b64_e32 v[6:7], s[10:11]
	s_add_u32 s20, s20, 8
	v_cmp_ge_u64_e32 vcc, s[22:23], v[6:7]
	s_addc_u32 s21, s21, 0
	s_cbranch_vccnz .LBB0_9
; %bb.7:                                ;   in Loop: Header=BB0_2 Depth=1
	v_mov_b64_e32 v[6:7], v[10:11]
	s_branch .LBB0_2
.LBB0_8:
	v_mov_b64_e32 v[8:9], v[2:3]
	v_mov_b64_e32 v[10:11], v[6:7]
.LBB0_9:
	s_load_dwordx2 s[0:1], s[0:1], 0x28
	s_lshl_b64 s[10:11], s[10:11], 3
	s_add_u32 s2, s14, s10
	s_addc_u32 s3, s15, s11
	v_and_b32_e32 v12, 15, v0
	s_waitcnt lgkmcnt(0)
	v_cmp_gt_u64_e32 vcc, s[0:1], v[10:11]
	v_cmp_le_u64_e64 s[0:1], s[0:1], v[10:11]
	s_and_saveexec_b64 s[14:15], s[0:1]
	s_xor_b64 s[0:1], exec, s[14:15]
; %bb.10:
	v_and_b32_e32 v12, 15, v0
                                        ; implicit-def: $vgpr2_vgpr3
; %bb.11:
	s_or_saveexec_b64 s[0:1], s[0:1]
	v_mul_u32_u24_e32 v1, 0x60, v1
	v_lshlrev_b32_e32 v0, 2, v1
	s_xor_b64 exec, exec, s[0:1]
	s_cbranch_execz .LBB0_13
; %bb.12:
	s_add_u32 s10, s12, s10
	s_addc_u32 s11, s13, s11
	s_load_dwordx2 s[10:11], s[10:11], 0x0
	v_lshlrev_b32_e32 v4, 2, v12
	s_waitcnt lgkmcnt(0)
	v_mul_lo_u32 v5, s11, v10
	v_mul_lo_u32 v13, s10, v11
	v_mad_u64_u32 v[6:7], s[10:11], s10, v10, 0
	v_add3_u32 v7, v7, v13, v5
	v_lshl_add_u64 v[6:7], v[6:7], 2, s[4:5]
	v_lshl_add_u64 v[2:3], v[2:3], 2, v[6:7]
	v_mov_b32_e32 v5, 0
	v_lshl_add_u64 v[2:3], v[2:3], 0, v[4:5]
	global_load_dword v5, v[2:3], off
	global_load_dword v6, v[2:3], off offset:64
	global_load_dword v7, v[2:3], off offset:128
	;; [unrolled: 1-line block ×5, first 2 shown]
	v_or_b32_e32 v2, v1, v12
	v_add_u32_e32 v1, v1, v12
	v_lshl_add_u32 v2, v2, 2, 0
	v_lshl_add_u32 v1, v1, 2, 0
	v_add3_u32 v3, 0, v0, v4
	s_waitcnt vmcnt(5)
	ds_write_b32 v2, v5
	s_waitcnt vmcnt(4)
	ds_write_b32 v1, v6 offset:64
	s_waitcnt vmcnt(2)
	ds_write2_b32 v3, v7, v13 offset0:32 offset1:48
	s_waitcnt vmcnt(0)
	ds_write2_b32 v3, v14, v15 offset0:64 offset1:80
.LBB0_13:
	s_or_b64 exec, exec, s[0:1]
	v_lshlrev_b32_e32 v1, 2, v12
	v_add_u32_e32 v13, 0, v0
	v_add3_u32 v28, 0, v1, v0
	s_load_dwordx2 s[2:3], s[2:3], 0x0
	s_waitcnt lgkmcnt(0)
	s_barrier
	v_add_u32_e32 v29, v13, v1
	ds_read2_b32 v[0:1], v28 offset0:16 offset1:32
	ds_read_b32 v4, v29
	ds_read2_b32 v[2:3], v28 offset0:48 offset1:64
	ds_read_b32 v5, v28 offset:320
	s_movk_i32 s0, 0x3aee
	s_mov_b32 s10, 0xffff
	s_waitcnt lgkmcnt(2)
	v_pk_add_f16 v6, v4, v1
	s_waitcnt lgkmcnt(1)
	v_pk_add_f16 v14, v1, v3
	v_pk_add_f16 v7, v0, v2
	v_pk_fma_f16 v4, v14, 0.5, v4 op_sel_hi:[1,0,1] neg_lo:[1,0,0] neg_hi:[1,0,0]
	s_waitcnt lgkmcnt(0)
	v_pk_add_f16 v14, v2, v5
	v_pk_add_f16 v2, v2, v5 neg_lo:[0,1] neg_hi:[0,1]
	v_pk_fma_f16 v0, v14, 0.5, v0 op_sel_hi:[1,0,1] neg_lo:[1,0,0] neg_hi:[1,0,0]
	v_pk_add_f16 v7, v7, v5
	v_pk_add_f16 v1, v1, v3 neg_lo:[0,1] neg_hi:[0,1]
	v_pk_fma_f16 v5, v2, s0, v0 op_sel:[0,0,1] op_sel_hi:[1,0,0] neg_lo:[1,0,0] neg_hi:[1,0,0]
	v_pk_fma_f16 v0, v2, s0, v0 op_sel:[0,0,1] op_sel_hi:[1,0,0]
	v_pk_mul_f16 v1, v1, s0 op_sel_hi:[1,0]
	s_mov_b32 s0, 0xbaee3aee
	v_pk_mul_f16 v2, v0, 0.5 op_sel_hi:[1,0]
	v_pk_add_f16 v6, v6, v3
	v_pk_fma_f16 v14, v5, s0, v2 op_sel:[0,0,1] op_sel_hi:[1,1,0]
	v_pk_fma_f16 v2, v5, s0, v2 op_sel:[0,0,1] op_sel_hi:[1,1,0] neg_lo:[0,0,1] neg_hi:[0,0,1]
	s_mov_b32 s0, 0x7060302
	v_pk_add_f16 v3, v4, v1 op_sel:[0,1] op_sel_hi:[1,0]
	v_pk_add_f16 v1, v4, v1 op_sel:[0,1] op_sel_hi:[1,0] neg_lo:[0,1] neg_hi:[0,1]
	v_perm_b32 v4, v0, v5, s0
	s_mov_b32 s0, 0xbaeeb800
	v_pk_mul_f16 v4, v4, s0
	v_pack_b32_f16 v0, v0, v5
	s_mov_b32 s0, 0x38003aee
	v_bfi_b32 v2, s10, v14, v2
	v_pk_fma_f16 v0, v0, s0, v4
	v_pk_add_f16 v15, v3, v2
	v_pk_add_f16 v19, v1, v0
	;; [unrolled: 1-line block ×3, first 2 shown]
	v_pk_add_f16 v24, v6, v7 neg_lo:[0,1] neg_hi:[0,1]
	v_alignbit_b32 v6, v3, v6, 16
	v_alignbit_b32 v7, v14, v7, 16
	v_pk_add_f16 v37, v1, v0 neg_lo:[0,1] neg_hi:[0,1]
	v_pk_add_f16 v2, v3, v2 neg_lo:[0,1] neg_hi:[0,1]
	v_mad_u32_u24 v3, v12, 20, v28
	v_bfi_b32 v0, s10, v19, v15
	v_bfi_b32 v1, s10, v15, v19
	v_lshrrev_b32_e32 v35, 16, v15
	v_pk_add_f16 v20, v6, v7 neg_lo:[0,1] neg_hi:[0,1]
	v_bfi_b32 v18, s10, v15, v2
	s_barrier
	ds_write_b32 v3, v30
	ds_write2_b32 v3, v1, v0 offset0:1 offset1:2
	ds_write_b16 v3, v24 offset:12
	v_alignbit_b32 v21, v37, v37, 16
	v_lshrrev_b32_e32 v0, 16, v2
	v_cmp_gt_u32_e64 s[0:1], 6, v12
	v_lshrrev_b32_e32 v31, 16, v19
	ds_write_b64 v3, v[20:21] offset:14
	ds_write_b16 v3, v0 offset:22
	s_waitcnt lgkmcnt(0)
	s_barrier
	s_waitcnt lgkmcnt(0)
                                        ; implicit-def: $vgpr36
                                        ; implicit-def: $vgpr25
                                        ; implicit-def: $vgpr21
                                        ; implicit-def: $vgpr14
                                        ; implicit-def: $vgpr32
                                        ; implicit-def: $vgpr33
                                        ; implicit-def: $vgpr16
                                        ; implicit-def: $vgpr34
                                        ; implicit-def: $vgpr38
                                        ; implicit-def: $vgpr22
                                        ; implicit-def: $vgpr40
                                        ; implicit-def: $vgpr41
                                        ; implicit-def: $vgpr39
                                        ; implicit-def: $vgpr27
                                        ; implicit-def: $vgpr26
	s_and_saveexec_b64 s[4:5], s[0:1]
	s_cbranch_execz .LBB0_15
; %bb.14:
	ds_read2_b32 v[24:25], v28 offset0:42 offset1:48
	ds_read2_b32 v[14:15], v28 offset0:54 offset1:60
	;; [unrolled: 1-line block ×7, first 2 shown]
	ds_read_b32 v30, v29
	ds_read_b32 v39, v28 offset:360
	s_waitcnt lgkmcnt(8)
	v_lshrrev_b32_e32 v36, 16, v25
	s_waitcnt lgkmcnt(7)
	v_lshrrev_b32_e32 v21, 16, v14
	v_lshrrev_b32_e32 v32, 16, v15
	s_waitcnt lgkmcnt(3)
	v_lshrrev_b32_e32 v33, 16, v16
	;; [unrolled: 3-line block ×4, first 2 shown]
	v_lshrrev_b32_e32 v31, 16, v18
	v_lshrrev_b32_e32 v35, 16, v19
	v_alignbit_b32 v20, v1, v0, 16
	v_bfi_b32 v37, s10, v26, v1
	v_bfi_b32 v18, s10, v18, v26
	;; [unrolled: 1-line block ×4, first 2 shown]
.LBB0_15:
	s_or_b64 exec, exec, s[4:5]
	s_barrier
	s_and_saveexec_b64 s[4:5], s[0:1]
	s_cbranch_execz .LBB0_17
; %bb.16:
	s_movk_i32 s0, 0xab
	v_mul_lo_u16_sdwa v0, v12, s0 dst_sel:DWORD dst_unused:UNUSED_PAD src0_sel:BYTE_0 src1_sel:DWORD
	v_lshrrev_b16_e32 v0, 10, v0
	v_mul_lo_u16_e32 v0, 6, v0
	v_sub_u16_e32 v0, v12, v0
	v_mul_lo_u16_e32 v0, 15, v0
	v_mov_b32_e32 v1, 2
	v_lshlrev_b32_sdwa v49, v1, v0 dst_sel:DWORD dst_unused:UNUSED_PAD src0_sel:DWORD src1_sel:BYTE_0
	global_load_dwordx4 v[42:45], v49, s[8:9] offset:16
	global_load_dwordx4 v[0:3], v49, s[8:9]
	global_load_dwordx4 v[4:7], v49, s[8:9] offset:32
	global_load_dwordx3 v[46:48], v49, s[8:9] offset:48
	v_lshrrev_b32_e32 v50, 16, v26
	v_lshrrev_b32_e32 v54, 16, v24
	v_lshrrev_b32_e32 v51, 16, v18
	v_lshrrev_b32_e32 v49, 16, v20
	s_movk_i32 s0, 0x39a8
	s_mov_b32 s1, 0xb9a8
	s_mov_b32 s8, 0xb61f
	;; [unrolled: 1-line block ×3, first 2 shown]
	s_movk_i32 s10, 0x3b64
	s_movk_i32 s11, 0x361f
	s_waitcnt vmcnt(3)
	v_mul_f16_sdwa v52, v50, v43 dst_sel:DWORD dst_unused:UNUSED_PAD src0_sel:DWORD src1_sel:WORD_1
	v_fma_f16 v52, v27, v43, -v52
	v_mul_f16_sdwa v27, v27, v43 dst_sel:DWORD dst_unused:UNUSED_PAD src0_sel:DWORD src1_sel:WORD_1
	v_fma_f16 v27, v50, v43, v27
	v_mul_f16_sdwa v43, v26, v44 dst_sel:DWORD dst_unused:UNUSED_PAD src0_sel:DWORD src1_sel:WORD_1
	v_mul_f16_sdwa v50, v54, v44 dst_sel:DWORD dst_unused:UNUSED_PAD src0_sel:DWORD src1_sel:WORD_1
	v_fma_f16 v43, v54, v44, v43
	v_fma_f16 v26, v26, v44, -v50
	v_mul_f16_sdwa v44, v37, v42 dst_sel:DWORD dst_unused:UNUSED_PAD src0_sel:DWORD src1_sel:WORD_1
	v_mul_f16_sdwa v50, v51, v42 dst_sel:DWORD dst_unused:UNUSED_PAD src0_sel:DWORD src1_sel:WORD_1
	v_fma_f16 v44, v51, v42, v44
	v_fma_f16 v42, v37, v42, -v50
	s_waitcnt vmcnt(0)
	v_mul_f16_sdwa v50, v23, v47 dst_sel:DWORD dst_unused:UNUSED_PAD src0_sel:DWORD src1_sel:WORD_1
	v_mul_f16_sdwa v51, v40, v47 dst_sel:DWORD dst_unused:UNUSED_PAD src0_sel:DWORD src1_sel:WORD_1
	;; [unrolled: 1-line block ×4, first 2 shown]
	v_fma_f16 v23, v23, v47, -v51
	v_fma_f16 v51, v22, v46, -v54
	v_mul_f16_sdwa v22, v22, v46 dst_sel:DWORD dst_unused:UNUSED_PAD src0_sel:DWORD src1_sel:WORD_1
	v_fma_f16 v40, v40, v47, v50
	v_mul_f16_sdwa v47, v39, v48 dst_sel:DWORD dst_unused:UNUSED_PAD src0_sel:DWORD src1_sel:WORD_1
	v_fma_f16 v53, v25, v45, -v53
	v_mul_f16_sdwa v25, v25, v45 dst_sel:DWORD dst_unused:UNUSED_PAD src0_sel:DWORD src1_sel:WORD_1
	v_mul_f16_sdwa v54, v35, v1 dst_sel:DWORD dst_unused:UNUSED_PAD src0_sel:DWORD src1_sel:WORD_1
	v_fma_f16 v47, v41, v48, v47
	v_mul_f16_sdwa v41, v41, v48 dst_sel:DWORD dst_unused:UNUSED_PAD src0_sel:DWORD src1_sel:WORD_1
	v_fma_f16 v22, v38, v46, v22
	v_mul_f16_sdwa v46, v24, v2 dst_sel:DWORD dst_unused:UNUSED_PAD src0_sel:DWORD src1_sel:WORD_1
	v_lshrrev_b32_e32 v37, 16, v37
	v_fma_f16 v25, v36, v45, v25
	v_mul_f16_sdwa v36, v49, v3 dst_sel:DWORD dst_unused:UNUSED_PAD src0_sel:DWORD src1_sel:WORD_1
	v_mul_f16_sdwa v45, v17, v7 dst_sel:DWORD dst_unused:UNUSED_PAD src0_sel:DWORD src1_sel:WORD_1
	v_fma_f16 v39, v39, v48, -v41
	v_mul_f16_sdwa v41, v32, v5 dst_sel:DWORD dst_unused:UNUSED_PAD src0_sel:DWORD src1_sel:WORD_1
	v_mul_f16_sdwa v38, v19, v1 dst_sel:DWORD dst_unused:UNUSED_PAD src0_sel:DWORD src1_sel:WORD_1
	;; [unrolled: 1-line block ×4, first 2 shown]
	v_fma_f16 v19, v19, v1, -v54
	v_mul_f16_sdwa v54, v31, v0 dst_sel:DWORD dst_unused:UNUSED_PAD src0_sel:DWORD src1_sel:WORD_1
	v_mul_f16_sdwa v55, v21, v4 dst_sel:DWORD dst_unused:UNUSED_PAD src0_sel:DWORD src1_sel:WORD_1
	v_fma_f16 v20, v20, v2, v46
	v_mul_f16_sdwa v46, v16, v6 dst_sel:DWORD dst_unused:UNUSED_PAD src0_sel:DWORD src1_sel:WORD_1
	v_mul_f16_sdwa v56, v33, v6 dst_sel:DWORD dst_unused:UNUSED_PAD src0_sel:DWORD src1_sel:WORD_1
	v_fma_f16 v1, v35, v1, v38
	v_mul_f16_sdwa v35, v34, v7 dst_sel:DWORD dst_unused:UNUSED_PAD src0_sel:DWORD src1_sel:WORD_1
	v_fma_f16 v32, v32, v5, v50
	v_fma_f16 v2, v24, v2, -v48
	v_fma_f16 v24, v33, v6, v46
	v_fma_f16 v33, v37, v3, v36
	;; [unrolled: 1-line block ×3, first 2 shown]
	v_fma_f16 v5, v15, v5, -v41
	v_fma_f16 v15, v18, v0, -v54
	;; [unrolled: 1-line block ×4, first 2 shown]
	v_mul_f16_sdwa v14, v14, v4 dst_sel:DWORD dst_unused:UNUSED_PAD src0_sel:DWORD src1_sel:WORD_1
	v_mul_f16_sdwa v18, v18, v0 dst_sel:DWORD dst_unused:UNUSED_PAD src0_sel:DWORD src1_sel:WORD_1
	v_fma_f16 v7, v17, v7, -v35
	v_sub_f16_e32 v16, v30, v53
	v_sub_f16_e32 v17, v33, v34
	;; [unrolled: 1-line block ×8, first 2 shown]
	v_fma_f16 v4, v21, v4, v14
	v_fma_f16 v0, v31, v0, v18
	v_sub_f16_e32 v32, v1, v32
	v_sub_f16_e32 v23, v52, v23
	;; [unrolled: 1-line block ×10, first 2 shown]
	v_add_f16_e32 v41, v32, v23
	v_add_f16_e32 v47, v24, v38
	v_fma_f16 v48, v40, s0, v39
	v_fma_f16 v14, v46, s0, v45
	v_add_f16_e32 v31, v4, v18
	v_fma_f16 v21, v41, s1, v48
	v_fma_f16 v14, v47, s1, v14
	;; [unrolled: 1-line block ×3, first 2 shown]
	v_fma_f16 v48, v39, 2.0, -v21
	v_fma_f16 v50, v45, 2.0, -v14
	v_fma_f16 v51, v46, s0, v51
	v_mul_f16_sdwa v37, v37, v3 dst_sel:DWORD dst_unused:UNUSED_PAD src0_sel:DWORD src1_sel:WORD_1
	v_fma_f16 v53, v50, s8, v48
	v_fma_f16 v3, v49, v3, -v37
	v_fma_f16 v37, v31, 2.0, -v51
	v_fma_f16 v49, v37, s9, v53
	v_lshrrev_b32_e32 v53, 16, v30
	v_sub_f16_e32 v25, v53, v25
	v_sub_f16_e32 v7, v3, v7
	v_add_f16_e32 v54, v25, v7
	v_fma_f16 v55, v41, s0, v54
	v_fma_f16 v55, v40, s0, v55
	v_fma_f16 v56, v54, 2.0, -v55
	v_fma_f16 v40, v5, 2.0, -v40
	;; [unrolled: 1-line block ×13, first 2 shown]
	v_fma_f16 v37, v37, s8, v56
	v_fma_f16 v39, v16, 2.0, -v39
	v_fma_f16 v45, v35, 2.0, -v45
	;; [unrolled: 1-line block ×11, first 2 shown]
	v_sub_f16_e32 v4, v0, v4
	v_sub_f16_e32 v6, v2, v6
	;; [unrolled: 1-line block ×4, first 2 shown]
	v_fma_f16 v37, v50, s10, v37
	v_fma_f16 v50, v46, s1, v45
	v_sub_f16_e32 v3, v16, v3
	v_sub_f16_e32 v7, v1, v7
	;; [unrolled: 1-line block ×4, first 2 shown]
	v_add_f16_e32 v22, v4, v6
	v_add_f16_e32 v23, v17, v19
	v_fma_f16 v50, v47, s1, v50
	v_fma_f16 v47, v47, s1, v31
	v_fma_f16 v41, v32, 2.0, -v41
	v_sub_f16_e32 v27, v3, v7
	v_sub_f16_e32 v32, v18, v24
	v_fma_f16 v33, v22, s0, v23
	v_fma_f16 v46, v46, s0, v47
	;; [unrolled: 1-line block ×5, first 2 shown]
	v_fma_f16 v36, v3, 2.0, -v27
	v_fma_f16 v32, v18, 2.0, -v32
	;; [unrolled: 1-line block ×7, first 2 shown]
	v_fma_f16 v47, v41, s1, v47
	v_fma_f16 v41, v41, s1, v54
	;; [unrolled: 1-line block ×4, first 2 shown]
	v_fma_f16 v22, v4, 2.0, -v22
	v_fma_f16 v3, v16, 2.0, -v3
	;; [unrolled: 1-line block ×5, first 2 shown]
	v_sub_f16_e32 v1, v17, v1
	v_sub_f16_e32 v2, v7, v2
	v_fma_f16 v40, v40, s0, v41
	v_fma_f16 v38, v22, s1, v38
	v_sub_f16_e32 v5, v3, v5
	v_sub_f16_e32 v4, v0, v4
	v_add_f16_e32 v6, v1, v2
	v_fma_f16 v24, v39, 2.0, -v47
	v_fma_f16 v25, v45, 2.0, -v50
	;; [unrolled: 1-line block ×4, first 2 shown]
	v_fma_f16 v36, v25, s9, v24
	v_fma_f16 v31, v31, 2.0, -v46
	v_fma_f16 v39, v54, 2.0, -v40
	;; [unrolled: 1-line block ×6, first 2 shown]
	v_fma_f16 v41, v14, s10, v21
	v_fma_f16 v22, v22, s1, v42
	;; [unrolled: 1-line block ×4, first 2 shown]
	v_sub_f16_e32 v2, v3, v2
	v_sub_f16_e32 v0, v1, v0
	v_fma_f16 v41, v51, s8, v41
	v_fma_f16 v51, v51, s10, v55
	;; [unrolled: 1-line block ×4, first 2 shown]
	v_fma_f16 v3, v3, 2.0, -v2
	v_fma_f16 v1, v1, 2.0, -v0
	v_fma_f16 v14, v14, s11, v51
	v_fma_f16 v51, v50, s11, v47
	;; [unrolled: 1-line block ×3, first 2 shown]
	v_sub_f16_e32 v16, v5, v4
	v_fma_f16 v18, v42, 2.0, -v22
	v_fma_f16 v24, v24, 2.0, -v36
	;; [unrolled: 1-line block ×3, first 2 shown]
	v_pack_b32_f16 v1, v3, v1
	v_fma_f16 v51, v46, s9, v51
	v_fma_f16 v30, v50, s10, v30
	v_fma_f16 v32, v48, 2.0, -v49
	v_fma_f16 v43, v56, 2.0, -v37
	;; [unrolled: 1-line block ×3, first 2 shown]
	ds_write_b32 v29, v1
	v_pack_b32_f16 v1, v24, v31
	v_pack_b32_f16 v3, v15, v18
	v_fma_f16 v34, v47, 2.0, -v51
	v_fma_f16 v35, v40, 2.0, -v30
	;; [unrolled: 1-line block ×4, first 2 shown]
	ds_write2_b32 v28, v1, v3 offset0:6 offset1:12
	v_pack_b32_f16 v1, v32, v43
	v_pack_b32_f16 v3, v19, v20
	v_fma_f16 v21, v21, 2.0, -v41
	v_fma_f16 v55, v55, 2.0, -v14
	ds_write2_b32 v28, v1, v3 offset0:18 offset1:24
	v_pack_b32_f16 v1, v34, v35
	v_pack_b32_f16 v3, v4, v5
	ds_write2_b32 v28, v1, v3 offset0:30 offset1:36
	v_pack_b32_f16 v1, v21, v55
	v_pack_b32_f16 v0, v2, v0
	;; [unrolled: 3-line block ×5, first 2 shown]
	ds_write2_b32 v28, v0, v1 offset0:78 offset1:84
	v_pack_b32_f16 v0, v41, v14
	ds_write_b32 v28, v0 offset:360
.LBB0_17:
	s_or_b64 exec, exec, s[4:5]
	s_waitcnt lgkmcnt(0)
	s_barrier
	s_and_saveexec_b64 s[0:1], vcc
	s_cbranch_execz .LBB0_19
; %bb.18:
	v_mul_lo_u32 v2, s3, v10
	v_mul_lo_u32 v3, s2, v11
	v_mad_u64_u32 v[0:1], s[0:1], s2, v10, 0
	v_lshl_add_u32 v10, v12, 2, v13
	v_add3_u32 v1, v1, v3, v2
	ds_read2_b32 v[2:3], v10 offset1:16
	v_lshl_add_u64 v[0:1], v[0:1], 2, s[6:7]
	v_mov_b32_e32 v13, 0
	v_lshl_add_u64 v[0:1], v[8:9], 2, v[0:1]
	v_lshl_add_u64 v[4:5], v[12:13], 2, v[0:1]
	ds_read2_b32 v[6:7], v10 offset0:32 offset1:48
	s_waitcnt lgkmcnt(1)
	global_store_dword v[4:5], v2, off
	v_add_u32_e32 v4, 16, v12
	v_mov_b32_e32 v5, v13
	v_lshl_add_u64 v[4:5], v[4:5], 2, v[0:1]
	global_store_dword v[4:5], v3, off
	v_add_u32_e32 v2, 32, v12
	v_mov_b32_e32 v3, v13
	v_lshl_add_u64 v[2:3], v[2:3], 2, v[0:1]
	ds_read2_b32 v[4:5], v10 offset0:64 offset1:80
	s_waitcnt lgkmcnt(1)
	global_store_dword v[2:3], v6, off
	v_add_u32_e32 v2, 48, v12
	v_mov_b32_e32 v3, v13
	v_lshl_add_u64 v[2:3], v[2:3], 2, v[0:1]
	global_store_dword v[2:3], v7, off
	v_add_u32_e32 v2, 64, v12
	v_mov_b32_e32 v3, v13
	v_add_u32_e32 v12, 0x50, v12
	v_lshl_add_u64 v[2:3], v[2:3], 2, v[0:1]
	v_lshl_add_u64 v[0:1], v[12:13], 2, v[0:1]
	s_waitcnt lgkmcnt(0)
	global_store_dword v[2:3], v4, off
	global_store_dword v[0:1], v5, off
.LBB0_19:
	s_endpgm
	.section	.rodata,"a",@progbits
	.p2align	6, 0x0
	.amdhsa_kernel fft_rtc_fwd_len96_factors_6_16_wgs_128_tpt_16_half_op_CI_CI_unitstride_sbrr_dirReg
		.amdhsa_group_segment_fixed_size 0
		.amdhsa_private_segment_fixed_size 0
		.amdhsa_kernarg_size 104
		.amdhsa_user_sgpr_count 2
		.amdhsa_user_sgpr_dispatch_ptr 0
		.amdhsa_user_sgpr_queue_ptr 0
		.amdhsa_user_sgpr_kernarg_segment_ptr 1
		.amdhsa_user_sgpr_dispatch_id 0
		.amdhsa_user_sgpr_kernarg_preload_length 0
		.amdhsa_user_sgpr_kernarg_preload_offset 0
		.amdhsa_user_sgpr_private_segment_size 0
		.amdhsa_uses_dynamic_stack 0
		.amdhsa_enable_private_segment 0
		.amdhsa_system_sgpr_workgroup_id_x 1
		.amdhsa_system_sgpr_workgroup_id_y 0
		.amdhsa_system_sgpr_workgroup_id_z 0
		.amdhsa_system_sgpr_workgroup_info 0
		.amdhsa_system_vgpr_workitem_id 0
		.amdhsa_next_free_vgpr 57
		.amdhsa_next_free_sgpr 28
		.amdhsa_accum_offset 60
		.amdhsa_reserve_vcc 1
		.amdhsa_float_round_mode_32 0
		.amdhsa_float_round_mode_16_64 0
		.amdhsa_float_denorm_mode_32 3
		.amdhsa_float_denorm_mode_16_64 3
		.amdhsa_dx10_clamp 1
		.amdhsa_ieee_mode 1
		.amdhsa_fp16_overflow 0
		.amdhsa_tg_split 0
		.amdhsa_exception_fp_ieee_invalid_op 0
		.amdhsa_exception_fp_denorm_src 0
		.amdhsa_exception_fp_ieee_div_zero 0
		.amdhsa_exception_fp_ieee_overflow 0
		.amdhsa_exception_fp_ieee_underflow 0
		.amdhsa_exception_fp_ieee_inexact 0
		.amdhsa_exception_int_div_zero 0
	.end_amdhsa_kernel
	.text
.Lfunc_end0:
	.size	fft_rtc_fwd_len96_factors_6_16_wgs_128_tpt_16_half_op_CI_CI_unitstride_sbrr_dirReg, .Lfunc_end0-fft_rtc_fwd_len96_factors_6_16_wgs_128_tpt_16_half_op_CI_CI_unitstride_sbrr_dirReg
                                        ; -- End function
	.section	.AMDGPU.csdata,"",@progbits
; Kernel info:
; codeLenInByte = 4216
; NumSgprs: 34
; NumVgprs: 57
; NumAgprs: 0
; TotalNumVgprs: 57
; ScratchSize: 0
; MemoryBound: 0
; FloatMode: 240
; IeeeMode: 1
; LDSByteSize: 0 bytes/workgroup (compile time only)
; SGPRBlocks: 4
; VGPRBlocks: 7
; NumSGPRsForWavesPerEU: 34
; NumVGPRsForWavesPerEU: 57
; AccumOffset: 60
; Occupancy: 8
; WaveLimiterHint : 1
; COMPUTE_PGM_RSRC2:SCRATCH_EN: 0
; COMPUTE_PGM_RSRC2:USER_SGPR: 2
; COMPUTE_PGM_RSRC2:TRAP_HANDLER: 0
; COMPUTE_PGM_RSRC2:TGID_X_EN: 1
; COMPUTE_PGM_RSRC2:TGID_Y_EN: 0
; COMPUTE_PGM_RSRC2:TGID_Z_EN: 0
; COMPUTE_PGM_RSRC2:TIDIG_COMP_CNT: 0
; COMPUTE_PGM_RSRC3_GFX90A:ACCUM_OFFSET: 14
; COMPUTE_PGM_RSRC3_GFX90A:TG_SPLIT: 0
	.text
	.p2alignl 6, 3212836864
	.fill 256, 4, 3212836864
	.type	__hip_cuid_b6bab5cbf6cc0328,@object ; @__hip_cuid_b6bab5cbf6cc0328
	.section	.bss,"aw",@nobits
	.globl	__hip_cuid_b6bab5cbf6cc0328
__hip_cuid_b6bab5cbf6cc0328:
	.byte	0                               ; 0x0
	.size	__hip_cuid_b6bab5cbf6cc0328, 1

	.ident	"AMD clang version 19.0.0git (https://github.com/RadeonOpenCompute/llvm-project roc-6.4.0 25133 c7fe45cf4b819c5991fe208aaa96edf142730f1d)"
	.section	".note.GNU-stack","",@progbits
	.addrsig
	.addrsig_sym __hip_cuid_b6bab5cbf6cc0328
	.amdgpu_metadata
---
amdhsa.kernels:
  - .agpr_count:     0
    .args:
      - .actual_access:  read_only
        .address_space:  global
        .offset:         0
        .size:           8
        .value_kind:     global_buffer
      - .offset:         8
        .size:           8
        .value_kind:     by_value
      - .actual_access:  read_only
        .address_space:  global
        .offset:         16
        .size:           8
        .value_kind:     global_buffer
      - .actual_access:  read_only
        .address_space:  global
        .offset:         24
        .size:           8
        .value_kind:     global_buffer
      - .actual_access:  read_only
        .address_space:  global
        .offset:         32
        .size:           8
        .value_kind:     global_buffer
      - .offset:         40
        .size:           8
        .value_kind:     by_value
      - .actual_access:  read_only
        .address_space:  global
        .offset:         48
        .size:           8
        .value_kind:     global_buffer
      - .actual_access:  read_only
        .address_space:  global
        .offset:         56
        .size:           8
        .value_kind:     global_buffer
      - .offset:         64
        .size:           4
        .value_kind:     by_value
      - .actual_access:  read_only
        .address_space:  global
        .offset:         72
        .size:           8
        .value_kind:     global_buffer
      - .actual_access:  read_only
        .address_space:  global
        .offset:         80
        .size:           8
        .value_kind:     global_buffer
      - .actual_access:  read_only
        .address_space:  global
        .offset:         88
        .size:           8
        .value_kind:     global_buffer
      - .actual_access:  write_only
        .address_space:  global
        .offset:         96
        .size:           8
        .value_kind:     global_buffer
    .group_segment_fixed_size: 0
    .kernarg_segment_align: 8
    .kernarg_segment_size: 104
    .language:       OpenCL C
    .language_version:
      - 2
      - 0
    .max_flat_workgroup_size: 128
    .name:           fft_rtc_fwd_len96_factors_6_16_wgs_128_tpt_16_half_op_CI_CI_unitstride_sbrr_dirReg
    .private_segment_fixed_size: 0
    .sgpr_count:     34
    .sgpr_spill_count: 0
    .symbol:         fft_rtc_fwd_len96_factors_6_16_wgs_128_tpt_16_half_op_CI_CI_unitstride_sbrr_dirReg.kd
    .uniform_work_group_size: 1
    .uses_dynamic_stack: false
    .vgpr_count:     57
    .vgpr_spill_count: 0
    .wavefront_size: 64
amdhsa.target:   amdgcn-amd-amdhsa--gfx950
amdhsa.version:
  - 1
  - 2
...

	.end_amdgpu_metadata
